;; amdgpu-corpus repo=zjin-lcf/HeCBench kind=compiled arch=gfx1250 opt=O3
	.amdgcn_target "amdgcn-amd-amdhsa--gfx1250"
	.amdhsa_code_object_version 6
	.text
	.protected	_Z13matern_kernelifPKfS0_S0_Pf ; -- Begin function _Z13matern_kernelifPKfS0_S0_Pf
	.globl	_Z13matern_kernelifPKfS0_S0_Pf
	.p2align	8
	.type	_Z13matern_kernelifPKfS0_S0_Pf,@function
_Z13matern_kernelifPKfS0_S0_Pf:         ; @_Z13matern_kernelifPKfS0_S0_Pf
; %bb.0:
	s_clause 0x1
	s_load_b32 s2, s[0:1], 0x34
	s_load_b64 s[4:5], s[0:1], 0x0
	s_bfe_u32 s3, ttmp6, 0x4000c
	s_and_b32 s6, ttmp6, 15
	s_add_co_i32 s3, s3, 1
	s_getreg_b32 s7, hwreg(HW_REG_IB_STS2, 6, 4)
	s_mul_i32 s3, ttmp9, s3
	v_and_b32_e32 v2, 0x3ff, v0
	s_add_co_i32 s6, s6, s3
	s_wait_kmcnt 0x0
	s_and_b32 s2, s2, 0xffff
	s_cmp_eq_u32 s7, 0
	s_cselect_b32 s3, ttmp9, s6
	s_delay_alu instid0(SALU_CYCLE_1) | instskip(SKIP_1) | instid1(VALU_DEP_1)
	v_mad_u32 v1, s3, s2, v2
	s_mov_b32 s2, exec_lo
	v_cmpx_gt_i32_e64 s4, v1
	s_cbranch_execz .LBB0_8
; %bb.1:
	v_bfe_u32 v3, v0, 10, 10
	s_delay_alu instid0(VALU_DEP_1)
	v_cmp_gt_u32_e32 vcc_lo, 50, v3
	s_and_b32 exec_lo, exec_lo, vcc_lo
	s_cbranch_execz .LBB0_8
; %bb.2:
	v_cmp_eq_u32_e64 s2, 0, v3
	v_mul_u32_u24_e32 v4, 12, v2
	v_mad_u32_u24 v5, v2, 12, 0xfb0
	s_and_saveexec_b32 s3, s2
	s_cbranch_execz .LBB0_4
; %bb.3:
	s_load_b64 s[6:7], s[0:1], 0x10
	v_lshl_add_u32 v6, v1, 1, v1
	s_delay_alu instid0(VALU_DEP_1) | instskip(SKIP_1) | instid1(VALU_DEP_1)
	v_ashrrev_i32_e32 v7, 31, v6
	s_wait_kmcnt 0x0
	v_lshl_add_u64 v[6:7], v[6:7], 2, s[6:7]
	global_load_b96 v[6:8], v[6:7], off
	s_wait_loadcnt 0x0
	ds_store_2addr_b32 v5, v6, v7 offset1:1
	ds_store_b32 v4, v8 offset:4024
.LBB0_4:
	s_or_b32 exec_lo, exec_lo, s3
	v_lshlrev_b32_e32 v0, 2, v3
	s_mov_b32 s3, exec_lo
	v_cmpx_eq_u32_e32 0, v2
	s_cbranch_execz .LBB0_6
; %bb.5:
	s_clause 0x1
	s_load_b64 s[6:7], s[0:1], 0x8
	s_load_b64 s[8:9], s[0:1], 0x18
	v_mul_u32_u24_e32 v6, 3, v3
	s_delay_alu instid0(VALU_DEP_1)
	v_lshlrev_b32_e32 v9, 2, v6
	s_wait_kmcnt 0x0
	global_load_b96 v[6:8], v9, s[6:7]
	global_load_b32 v10, v3, s[8:9] scale_offset
	v_add_nc_u32_e32 v11, 0xc80, v9
	s_wait_loadcnt 0x1
	ds_store_2addr_b32 v11, v6, v7 offset1:1
	ds_store_b32 v9, v8 offset:3208
	s_wait_loadcnt 0x0
	ds_store_b32 v0, v10 offset:3808
.LBB0_6:
	s_or_b32 exec_lo, exec_lo, s3
	v_mad_u32_u24 v8, v3, 12, 0xc80
	s_wait_dscnt 0x0
	s_barrier_signal -1
	s_barrier_wait -1
	ds_load_2addr_b32 v[6:7], v5 offset1:1
	ds_load_2addr_b32 v[8:9], v8 offset1:1
	v_mul_u32_u24_e32 v3, 12, v3
	s_wait_dscnt 0x0
	v_sub_f32_e32 v10, v7, v9
	ds_load_b32 v7, v4 offset:4024
	ds_load_b32 v9, v3 offset:3208
	;; [unrolled: 1-line block ×3, first 2 shown]
	v_mad_u32_u24 v0, 0xc8, v2, v0
	s_wait_dscnt 0x1
	v_pk_add_f32 v[4:5], v[6:7], v[8:9] neg_lo:[0,1] neg_hi:[0,1]
	s_delay_alu instid0(VALU_DEP_1) | instskip(NEXT) | instid1(VALU_DEP_1)
	v_pk_mul_f32 v[4:5], v[4:5], v[4:5]
	v_fma_f32 v4, v10, v10, v4
	s_delay_alu instid0(VALU_DEP_1) | instskip(NEXT) | instid1(VALU_DEP_1)
	v_add_f32_e32 v4, v4, v5
	v_mul_f32_e32 v5, 0x4f800000, v4
	v_cmp_gt_f32_e32 vcc_lo, 0xf800000, v4
	s_delay_alu instid0(VALU_DEP_2) | instskip(NEXT) | instid1(VALU_DEP_1)
	v_cndmask_b32_e32 v5, v4, v5, vcc_lo
	v_sqrt_f32_e32 v6, v5
	v_nop
	s_delay_alu instid0(TRANS32_DEP_1) | instskip(NEXT) | instid1(VALU_DEP_1)
	v_dual_add_nc_u32 v7, -1, v6 :: v_dual_add_nc_u32 v8, 1, v6
	v_dual_fma_f32 v9, -v7, v6, v5 :: v_dual_fma_f32 v10, -v8, v6, v5
	s_delay_alu instid0(VALU_DEP_1) | instskip(NEXT) | instid1(VALU_DEP_1)
	v_cmp_ge_f32_e64 s3, 0, v9
	v_cndmask_b32_e64 v6, v6, v7, s3
	s_delay_alu instid0(VALU_DEP_3) | instskip(NEXT) | instid1(VALU_DEP_1)
	v_cmp_lt_f32_e64 s3, 0, v10
	v_cndmask_b32_e64 v6, v6, v8, s3
	s_mul_f32 s3, s5, 0x40400000
	s_delay_alu instid0(VALU_DEP_1) | instskip(NEXT) | instid1(SALU_CYCLE_2)
	v_mul_f32_e32 v7, 0x37800000, v6
	s_mul_f32 s6, s5, s3
	s_delay_alu instid0(VALU_DEP_1) | instskip(SKIP_2) | instid1(VALU_DEP_3)
	v_cndmask_b32_e32 v8, v6, v7, vcc_lo
	v_cmp_class_f32_e64 vcc_lo, v5, 0x260
	v_mov_b64_e32 v[6:7], 0x400f1bbd40a00000
	v_cndmask_b32_e32 v5, v8, v5, vcc_lo
	s_delay_alu instid0(VALU_DEP_1) | instskip(SKIP_1) | instid1(VALU_DEP_2)
	v_pk_mul_f32 v[6:7], v[4:5], v[6:7]
	v_mul_f32_e32 v4, 0xc00f1bbd, v5
	v_div_scale_f32 v5, null, s6, s6, v6
	s_delay_alu instid0(VALU_DEP_2) | instskip(NEXT) | instid1(VALU_DEP_4)
	v_div_scale_f32 v9, null, s5, s5, v4
	v_div_scale_f32 v8, null, s5, s5, v7
	s_delay_alu instid0(VALU_DEP_3) | instskip(NEXT) | instid1(VALU_DEP_2)
	v_rcp_f32_e32 v10, v5
	v_rcp_f32_e32 v12, v9
	v_div_scale_f32 v13, vcc_lo, v6, s6, v6
	s_delay_alu instid0(VALU_DEP_2) | instskip(SKIP_1) | instid1(TRANS32_DEP_3)
	v_rcp_f32_e32 v11, v8
	v_div_scale_f32 v18, s4, v4, s5, v4
	v_fma_f32 v15, -v5, v10, 1.0
	s_delay_alu instid0(TRANS32_DEP_2) | instskip(SKIP_1) | instid1(TRANS32_DEP_1)
	v_fma_f32 v17, -v9, v12, 1.0
	v_div_scale_f32 v14, s3, v7, s5, v7
	v_fma_f32 v16, -v8, v11, 1.0
	s_delay_alu instid0(VALU_DEP_3) | instskip(NEXT) | instid1(VALU_DEP_1)
	v_dual_fmac_f32 v10, v15, v10 :: v_dual_fmac_f32 v12, v17, v12
	v_dual_fmac_f32 v11, v16, v11 :: v_dual_mul_f32 v15, v13, v10
	s_delay_alu instid0(VALU_DEP_2) | instskip(NEXT) | instid1(VALU_DEP_1)
	v_mul_f32_e32 v17, v18, v12
	v_dual_mul_f32 v16, v14, v11 :: v_dual_fma_f32 v21, -v9, v17, v18
	s_delay_alu instid0(VALU_DEP_1) | instskip(NEXT) | instid1(VALU_DEP_1)
	v_dual_fma_f32 v19, -v5, v15, v13 :: v_dual_fma_f32 v20, -v8, v16, v14
	v_dual_fmac_f32 v17, v21, v12 :: v_dual_fmac_f32 v15, v19, v10
	s_delay_alu instid0(VALU_DEP_2) | instskip(NEXT) | instid1(VALU_DEP_1)
	v_fmac_f32_e32 v16, v20, v11
	v_dual_fma_f32 v5, -v5, v15, v13 :: v_dual_fma_f32 v8, -v8, v16, v14
	s_delay_alu instid0(VALU_DEP_1) | instskip(SKIP_1) | instid1(VALU_DEP_2)
	v_div_fmas_f32 v5, v5, v10, v15
	s_mov_b32 vcc_lo, s3
	v_div_fmas_f32 v8, v8, v11, v16
	s_mov_b32 vcc_lo, s4
	s_delay_alu instid0(VALU_DEP_2) | instskip(NEXT) | instid1(VALU_DEP_2)
	v_div_fixup_f32 v5, v5, s6, v6
	v_div_fixup_f32 v7, v8, s5, v7
	s_delay_alu instid0(VALU_DEP_1) | instskip(NEXT) | instid1(VALU_DEP_1)
	v_dual_fma_f32 v9, -v9, v17, v18 :: v_dual_add_f32 v6, 1.0, v7
	v_div_fmas_f32 v9, v9, v12, v17
	s_delay_alu instid0(VALU_DEP_2) | instskip(NEXT) | instid1(VALU_DEP_2)
	v_add_f32_e32 v5, v5, v6
	v_div_fixup_f32 v4, v9, s5, v4
	s_delay_alu instid0(VALU_DEP_1) | instskip(SKIP_1) | instid1(VALU_DEP_2)
	v_mul_f32_e32 v9, 0x3fb8aa3b, v4
	v_cmp_ngt_f32_e32 vcc_lo, 0xc2ce8ed0, v4
	v_fma_f32 v10, 0x3fb8aa3b, v4, -v9
	v_rndne_f32_e32 v11, v9
	s_delay_alu instid0(VALU_DEP_1) | instskip(NEXT) | instid1(VALU_DEP_1)
	v_dual_fmamk_f32 v10, v4, 0x32a5705f, v10 :: v_dual_sub_f32 v9, v9, v11
	v_add_f32_e32 v9, v9, v10
	v_cvt_i32_f32_e32 v10, v11
	s_delay_alu instid0(VALU_DEP_2) | instskip(SKIP_1) | instid1(TRANS32_DEP_1)
	v_exp_f32_e32 v9, v9
	v_nop
	v_ldexp_f32 v8, v9, v10
	s_delay_alu instid0(VALU_DEP_1) | instskip(SKIP_1) | instid1(VALU_DEP_2)
	v_cndmask_b32_e32 v7, 0, v8, vcc_lo
	v_cmp_nlt_f32_e32 vcc_lo, 0x42b17218, v4
	v_cndmask_b32_e32 v4, 0x7f800000, v7, vcc_lo
	s_delay_alu instid0(VALU_DEP_1) | instskip(SKIP_1) | instid1(VALU_DEP_1)
	v_mul_f32_e32 v4, v4, v5
	s_wait_dscnt 0x0
	v_mul_f32_e32 v3, v4, v3
	ds_store_b32 v0, v3
	s_wait_dscnt 0x0
	s_barrier_signal -1
	s_barrier_wait -1
	s_and_b32 exec_lo, exec_lo, s2
	s_cbranch_execz .LBB0_8
; %bb.7:
	v_mul_u32_u24_e32 v0, 0xc8, v2
	s_load_b64 s[0:1], s[0:1], 0x20
	ds_load_2addr_b64 v[2:5], v0 offset1:1
	ds_load_2addr_b64 v[6:9], v0 offset0:2 offset1:3
	s_wait_dscnt 0x1
	v_add_f32_e32 v2, 0, v2
	s_delay_alu instid0(VALU_DEP_1) | instskip(NEXT) | instid1(VALU_DEP_1)
	v_add_f32_e32 v2, v2, v3
	v_add_f32_e32 v2, v2, v4
	s_delay_alu instid0(VALU_DEP_1) | instskip(SKIP_3) | instid1(VALU_DEP_1)
	v_add_f32_e32 v10, v2, v5
	ds_load_2addr_b64 v[2:5], v0 offset0:4 offset1:5
	s_wait_dscnt 0x1
	v_add_f32_e32 v6, v10, v6
	v_add_f32_e32 v6, v6, v7
	s_delay_alu instid0(VALU_DEP_1) | instskip(NEXT) | instid1(VALU_DEP_1)
	v_add_f32_e32 v6, v6, v8
	v_add_f32_e32 v10, v6, v9
	ds_load_2addr_b64 v[6:9], v0 offset0:6 offset1:7
	s_wait_dscnt 0x1
	v_add_f32_e32 v2, v10, v2
	s_delay_alu instid0(VALU_DEP_1) | instskip(NEXT) | instid1(VALU_DEP_1)
	v_add_f32_e32 v2, v2, v3
	v_add_f32_e32 v2, v2, v4
	s_delay_alu instid0(VALU_DEP_1) | instskip(SKIP_3) | instid1(VALU_DEP_1)
	v_add_f32_e32 v10, v2, v5
	ds_load_2addr_b64 v[2:5], v0 offset0:8 offset1:9
	s_wait_dscnt 0x1
	v_add_f32_e32 v6, v10, v6
	v_add_f32_e32 v6, v6, v7
	s_delay_alu instid0(VALU_DEP_1) | instskip(NEXT) | instid1(VALU_DEP_1)
	v_add_f32_e32 v6, v6, v8
	v_add_f32_e32 v10, v6, v9
	;; [unrolled: 15-line block ×5, first 2 shown]
	ds_load_2addr_b64 v[6:9], v0 offset0:22 offset1:23
	s_wait_dscnt 0x1
	v_add_f32_e32 v2, v10, v2
	s_delay_alu instid0(VALU_DEP_1) | instskip(NEXT) | instid1(VALU_DEP_1)
	v_add_f32_e32 v2, v2, v3
	v_add_f32_e32 v2, v2, v4
	s_delay_alu instid0(VALU_DEP_1) | instskip(SKIP_1) | instid1(VALU_DEP_1)
	v_add_f32_e32 v2, v2, v5
	s_wait_dscnt 0x0
	v_add_f32_e32 v4, v2, v6
	ds_load_b64 v[2:3], v0 offset:192
	v_add_f32_e32 v0, v4, v7
	s_delay_alu instid0(VALU_DEP_1) | instskip(NEXT) | instid1(VALU_DEP_1)
	v_add_f32_e32 v0, v0, v8
	v_add_f32_e32 v0, v0, v9
	s_wait_dscnt 0x0
	s_delay_alu instid0(VALU_DEP_1) | instskip(NEXT) | instid1(VALU_DEP_1)
	v_add_f32_e32 v0, v0, v2
	v_add_f32_e32 v0, v0, v3
	s_wait_kmcnt 0x0
	global_store_b32 v1, v0, s[0:1] scale_offset
.LBB0_8:
	s_endpgm
	.section	.rodata,"a",@progbits
	.p2align	6, 0x0
	.amdhsa_kernel _Z13matern_kernelifPKfS0_S0_Pf
		.amdhsa_group_segment_fixed_size 4208
		.amdhsa_private_segment_fixed_size 0
		.amdhsa_kernarg_size 296
		.amdhsa_user_sgpr_count 2
		.amdhsa_user_sgpr_dispatch_ptr 0
		.amdhsa_user_sgpr_queue_ptr 0
		.amdhsa_user_sgpr_kernarg_segment_ptr 1
		.amdhsa_user_sgpr_dispatch_id 0
		.amdhsa_user_sgpr_kernarg_preload_length 0
		.amdhsa_user_sgpr_kernarg_preload_offset 0
		.amdhsa_user_sgpr_private_segment_size 0
		.amdhsa_wavefront_size32 1
		.amdhsa_uses_dynamic_stack 0
		.amdhsa_enable_private_segment 0
		.amdhsa_system_sgpr_workgroup_id_x 1
		.amdhsa_system_sgpr_workgroup_id_y 0
		.amdhsa_system_sgpr_workgroup_id_z 0
		.amdhsa_system_sgpr_workgroup_info 0
		.amdhsa_system_vgpr_workitem_id 1
		.amdhsa_next_free_vgpr 22
		.amdhsa_next_free_sgpr 10
		.amdhsa_named_barrier_count 0
		.amdhsa_reserve_vcc 1
		.amdhsa_float_round_mode_32 0
		.amdhsa_float_round_mode_16_64 0
		.amdhsa_float_denorm_mode_32 3
		.amdhsa_float_denorm_mode_16_64 3
		.amdhsa_fp16_overflow 0
		.amdhsa_memory_ordered 1
		.amdhsa_forward_progress 1
		.amdhsa_inst_pref_size 13
		.amdhsa_round_robin_scheduling 0
		.amdhsa_exception_fp_ieee_invalid_op 0
		.amdhsa_exception_fp_denorm_src 0
		.amdhsa_exception_fp_ieee_div_zero 0
		.amdhsa_exception_fp_ieee_overflow 0
		.amdhsa_exception_fp_ieee_underflow 0
		.amdhsa_exception_fp_ieee_inexact 0
		.amdhsa_exception_int_div_zero 0
	.end_amdhsa_kernel
	.text
.Lfunc_end0:
	.size	_Z13matern_kernelifPKfS0_S0_Pf, .Lfunc_end0-_Z13matern_kernelifPKfS0_S0_Pf
                                        ; -- End function
	.set _Z13matern_kernelifPKfS0_S0_Pf.num_vgpr, 22
	.set _Z13matern_kernelifPKfS0_S0_Pf.num_agpr, 0
	.set _Z13matern_kernelifPKfS0_S0_Pf.numbered_sgpr, 10
	.set _Z13matern_kernelifPKfS0_S0_Pf.num_named_barrier, 0
	.set _Z13matern_kernelifPKfS0_S0_Pf.private_seg_size, 0
	.set _Z13matern_kernelifPKfS0_S0_Pf.uses_vcc, 1
	.set _Z13matern_kernelifPKfS0_S0_Pf.uses_flat_scratch, 0
	.set _Z13matern_kernelifPKfS0_S0_Pf.has_dyn_sized_stack, 0
	.set _Z13matern_kernelifPKfS0_S0_Pf.has_recursion, 0
	.set _Z13matern_kernelifPKfS0_S0_Pf.has_indirect_call, 0
	.section	.AMDGPU.csdata,"",@progbits
; Kernel info:
; codeLenInByte = 1560
; TotalNumSgprs: 12
; NumVgprs: 22
; ScratchSize: 0
; MemoryBound: 0
; FloatMode: 240
; IeeeMode: 1
; LDSByteSize: 4208 bytes/workgroup (compile time only)
; SGPRBlocks: 0
; VGPRBlocks: 1
; NumSGPRsForWavesPerEU: 12
; NumVGPRsForWavesPerEU: 22
; NamedBarCnt: 0
; Occupancy: 16
; WaveLimiterHint : 0
; COMPUTE_PGM_RSRC2:SCRATCH_EN: 0
; COMPUTE_PGM_RSRC2:USER_SGPR: 2
; COMPUTE_PGM_RSRC2:TRAP_HANDLER: 0
; COMPUTE_PGM_RSRC2:TGID_X_EN: 1
; COMPUTE_PGM_RSRC2:TGID_Y_EN: 0
; COMPUTE_PGM_RSRC2:TGID_Z_EN: 0
; COMPUTE_PGM_RSRC2:TIDIG_COMP_CNT: 1
	.text
	.p2alignl 7, 3214868480
	.fill 96, 4, 3214868480
	.section	.AMDGPU.gpr_maximums,"",@progbits
	.set amdgpu.max_num_vgpr, 0
	.set amdgpu.max_num_agpr, 0
	.set amdgpu.max_num_sgpr, 0
	.text
	.type	__hip_cuid_1e96d770846a022a,@object ; @__hip_cuid_1e96d770846a022a
	.section	.bss,"aw",@nobits
	.globl	__hip_cuid_1e96d770846a022a
__hip_cuid_1e96d770846a022a:
	.byte	0                               ; 0x0
	.size	__hip_cuid_1e96d770846a022a, 1

	.ident	"AMD clang version 22.0.0git (https://github.com/RadeonOpenCompute/llvm-project roc-7.2.4 26084 f58b06dce1f9c15707c5f808fd002e18c2accf7e)"
	.section	".note.GNU-stack","",@progbits
	.addrsig
	.addrsig_sym __hip_cuid_1e96d770846a022a
	.amdgpu_metadata
---
amdhsa.kernels:
  - .args:
      - .offset:         0
        .size:           4
        .value_kind:     by_value
      - .offset:         4
        .size:           4
        .value_kind:     by_value
      - .actual_access:  read_only
        .address_space:  global
        .offset:         8
        .size:           8
        .value_kind:     global_buffer
      - .actual_access:  read_only
        .address_space:  global
        .offset:         16
        .size:           8
        .value_kind:     global_buffer
      - .actual_access:  read_only
        .address_space:  global
        .offset:         24
        .size:           8
        .value_kind:     global_buffer
      - .actual_access:  write_only
        .address_space:  global
        .offset:         32
        .size:           8
        .value_kind:     global_buffer
      - .offset:         40
        .size:           4
        .value_kind:     hidden_block_count_x
      - .offset:         44
        .size:           4
        .value_kind:     hidden_block_count_y
      - .offset:         48
        .size:           4
        .value_kind:     hidden_block_count_z
      - .offset:         52
        .size:           2
        .value_kind:     hidden_group_size_x
      - .offset:         54
        .size:           2
        .value_kind:     hidden_group_size_y
      - .offset:         56
        .size:           2
        .value_kind:     hidden_group_size_z
      - .offset:         58
        .size:           2
        .value_kind:     hidden_remainder_x
      - .offset:         60
        .size:           2
        .value_kind:     hidden_remainder_y
      - .offset:         62
        .size:           2
        .value_kind:     hidden_remainder_z
      - .offset:         80
        .size:           8
        .value_kind:     hidden_global_offset_x
      - .offset:         88
        .size:           8
        .value_kind:     hidden_global_offset_y
      - .offset:         96
        .size:           8
        .value_kind:     hidden_global_offset_z
      - .offset:         104
        .size:           2
        .value_kind:     hidden_grid_dims
    .group_segment_fixed_size: 4208
    .kernarg_segment_align: 8
    .kernarg_segment_size: 296
    .language:       OpenCL C
    .language_version:
      - 2
      - 0
    .max_flat_workgroup_size: 1024
    .name:           _Z13matern_kernelifPKfS0_S0_Pf
    .private_segment_fixed_size: 0
    .sgpr_count:     12
    .sgpr_spill_count: 0
    .symbol:         _Z13matern_kernelifPKfS0_S0_Pf.kd
    .uniform_work_group_size: 1
    .uses_dynamic_stack: false
    .vgpr_count:     22
    .vgpr_spill_count: 0
    .wavefront_size: 32
amdhsa.target:   amdgcn-amd-amdhsa--gfx1250
amdhsa.version:
  - 1
  - 2
...

	.end_amdgpu_metadata
